;; amdgpu-corpus repo=ROCm/rocFFT kind=compiled arch=gfx1201 opt=O3
	.text
	.amdgcn_target "amdgcn-amd-amdhsa--gfx1201"
	.amdhsa_code_object_version 6
	.protected	fft_rtc_back_len112_factors_2_7_8_wgs_64_tpt_8_dim1_sp_op_CI_CI_unitstride_sbrr_C2R_dirReg ; -- Begin function fft_rtc_back_len112_factors_2_7_8_wgs_64_tpt_8_dim1_sp_op_CI_CI_unitstride_sbrr_C2R_dirReg
	.globl	fft_rtc_back_len112_factors_2_7_8_wgs_64_tpt_8_dim1_sp_op_CI_CI_unitstride_sbrr_C2R_dirReg
	.p2align	8
	.type	fft_rtc_back_len112_factors_2_7_8_wgs_64_tpt_8_dim1_sp_op_CI_CI_unitstride_sbrr_C2R_dirReg,@function
fft_rtc_back_len112_factors_2_7_8_wgs_64_tpt_8_dim1_sp_op_CI_CI_unitstride_sbrr_C2R_dirReg: ; @fft_rtc_back_len112_factors_2_7_8_wgs_64_tpt_8_dim1_sp_op_CI_CI_unitstride_sbrr_C2R_dirReg
; %bb.0:
	s_load_b128 s[4:7], s[0:1], 0x18
	v_lshrrev_b32_e32 v1, 3, v0
	v_dual_mov_b32 v31, 0 :: v_dual_and_b32 v28, 7, v0
	s_delay_alu instid0(VALU_DEP_2) | instskip(SKIP_1) | instid1(VALU_DEP_1)
	v_lshl_or_b32 v30, ttmp9, 3, v1
	s_wait_kmcnt 0x0
	v_cmp_gt_u64_e32 vcc_lo, s[6:7], v[30:31]
	v_cmp_le_u64_e64 s2, s[6:7], v[30:31]
	s_delay_alu instid0(VALU_DEP_1) | instskip(NEXT) | instid1(SALU_CYCLE_1)
	s_and_saveexec_b32 s3, s2
	s_xor_b32 s2, exec_lo, s3
; %bb.1:
	v_and_b32_e32 v28, 7, v0
; %bb.2:
	s_or_saveexec_b32 s3, s2
	s_load_b64 s[6:7], s[0:1], 0x0
	s_load_b64 s[4:5], s[4:5], 0x8
	v_mul_u32_u24_e32 v3, 0x71, v1
	s_delay_alu instid0(VALU_DEP_1)
	v_lshlrev_b32_e32 v5, 3, v3
	s_xor_b32 exec_lo, exec_lo, s3
	s_cbranch_execz .LBB0_6
; %bb.3:
	s_clause 0x1
	s_load_b64 s[8:9], s[0:1], 0x10
	s_load_b64 s[10:11], s[0:1], 0x50
	v_lshlrev_b32_e32 v4, 3, v28
	s_wait_kmcnt 0x0
	s_load_b64 s[8:9], s[8:9], 0x8
	s_wait_kmcnt 0x0
	v_mad_co_u64_u32 v[1:2], null, s8, v30, 0
	s_mov_b32 s8, exec_lo
	s_delay_alu instid0(VALU_DEP_1) | instskip(NEXT) | instid1(VALU_DEP_1)
	v_mad_co_u64_u32 v[6:7], null, s9, v30, v[2:3]
	v_mov_b32_e32 v2, v6
	s_delay_alu instid0(VALU_DEP_1) | instskip(NEXT) | instid1(VALU_DEP_1)
	v_lshlrev_b64_e32 v[1:2], 3, v[1:2]
	v_add_co_u32 v1, s2, s10, v1
	s_delay_alu instid0(VALU_DEP_1) | instskip(NEXT) | instid1(VALU_DEP_2)
	v_add_co_ci_u32_e64 v2, s2, s11, v2, s2
	v_add_co_u32 v6, s2, v1, v4
	s_wait_alu 0xf1ff
	s_delay_alu instid0(VALU_DEP_2)
	v_add_co_ci_u32_e64 v7, s2, 0, v2, s2
	v_add3_u32 v4, 0, v5, v4
	s_clause 0xd
	global_load_b64 v[8:9], v[6:7], off
	global_load_b64 v[10:11], v[6:7], off offset:64
	global_load_b64 v[12:13], v[6:7], off offset:128
	;; [unrolled: 1-line block ×13, first 2 shown]
	s_wait_loadcnt 0xc
	ds_store_2addr_b64 v4, v[8:9], v[10:11] offset1:8
	s_wait_loadcnt 0xa
	ds_store_2addr_b64 v4, v[12:13], v[14:15] offset0:16 offset1:24
	s_wait_loadcnt 0x8
	ds_store_2addr_b64 v4, v[16:17], v[18:19] offset0:32 offset1:40
	;; [unrolled: 2-line block ×6, first 2 shown]
	v_cmpx_eq_u32_e32 7, v28
	s_cbranch_execz .LBB0_5
; %bb.4:
	global_load_b64 v[1:2], v[1:2], off offset:896
	v_mov_b32_e32 v28, 7
	s_wait_loadcnt 0x0
	ds_store_b64 v4, v[1:2] offset:840
.LBB0_5:
	s_wait_alu 0xfffe
	s_or_b32 exec_lo, exec_lo, s8
.LBB0_6:
	s_delay_alu instid0(SALU_CYCLE_1)
	s_or_b32 exec_lo, exec_lo, s3
	v_lshl_add_u32 v35, v3, 3, 0
	v_lshlrev_b32_e32 v6, 3, v28
	global_wb scope:SCOPE_SE
	s_wait_dscnt 0x0
	s_wait_kmcnt 0x0
	s_barrier_signal -1
	s_barrier_wait -1
	global_inv scope:SCOPE_SE
	v_add_nc_u32_e32 v12, v35, v6
	v_sub_nc_u32_e32 v7, v35, v6
	s_mov_b32 s3, exec_lo
                                        ; implicit-def: $vgpr3_vgpr4
	ds_load_b32 v8, v12
	ds_load_b32 v9, v7 offset:896
	s_wait_dscnt 0x0
	v_dual_add_f32 v1, v9, v8 :: v_dual_sub_f32 v2, v8, v9
	v_cmpx_ne_u32_e32 0, v28
	s_wait_alu 0xfffe
	s_xor_b32 s3, exec_lo, s3
	s_cbranch_execz .LBB0_8
; %bb.7:
	v_dual_mov_b32 v29, 0 :: v_dual_add_f32 v10, v9, v8
	v_sub_f32_e32 v11, v8, v9
	s_delay_alu instid0(VALU_DEP_2) | instskip(NEXT) | instid1(VALU_DEP_1)
	v_lshlrev_b64_e32 v[1:2], 3, v[28:29]
	v_add_co_u32 v1, s2, s6, v1
	s_wait_alu 0xf1ff
	s_delay_alu instid0(VALU_DEP_2)
	v_add_co_ci_u32_e64 v2, s2, s7, v2, s2
	global_load_b64 v[3:4], v[1:2], off offset:880
	ds_load_b32 v1, v7 offset:900
	ds_load_b32 v2, v12 offset:4
	s_wait_dscnt 0x0
	v_add_f32_e32 v13, v1, v2
	v_sub_f32_e32 v1, v2, v1
	s_wait_loadcnt 0x0
	s_delay_alu instid0(VALU_DEP_1) | instskip(SKIP_2) | instid1(VALU_DEP_3)
	v_fma_f32 v2, v13, v4, v1
	v_fma_f32 v8, -v11, v4, v10
	v_fma_f32 v14, v11, v4, v10
	v_fmac_f32_e32 v2, v11, v3
	v_fma_f32 v9, v13, v4, -v1
	s_delay_alu instid0(VALU_DEP_4) | instskip(NEXT) | instid1(VALU_DEP_4)
	v_fmac_f32_e32 v8, v3, v13
	v_fma_f32 v1, -v3, v13, v14
	s_delay_alu instid0(VALU_DEP_3)
	v_fmac_f32_e32 v9, v11, v3
	v_dual_mov_b32 v3, v28 :: v_dual_mov_b32 v4, v29
	ds_store_b64 v7, v[8:9] offset:896
.LBB0_8:
	s_wait_alu 0xfffe
	s_and_not1_saveexec_b32 s2, s3
	s_cbranch_execz .LBB0_10
; %bb.9:
	ds_load_b64 v[3:4], v35 offset:448
	s_wait_dscnt 0x0
	v_dual_add_f32 v8, v3, v3 :: v_dual_mul_f32 v9, -2.0, v4
	v_mov_b32_e32 v3, 0
	v_mov_b32_e32 v4, 0
	ds_store_b64 v35, v[8:9] offset:448
.LBB0_10:
	s_wait_alu 0xfffe
	s_or_b32 exec_lo, exec_lo, s2
	v_lshlrev_b64_e32 v[3:4], 3, v[3:4]
	s_add_nc_u64 s[2:3], s[6:7], 0x370
	v_and_b32_e32 v27, 1, v0
	v_or_b32_e32 v36, 8, v28
	v_add3_u32 v29, 0, v6, v5
	v_lshlrev_b32_e32 v0, 4, v28
	s_wait_alu 0xfffe
	v_add_co_u32 v3, s2, s2, v3
	s_wait_alu 0xf1ff
	v_add_co_ci_u32_e64 v4, s2, s3, v4, s2
	s_clause 0x5
	global_load_b64 v[8:9], v[3:4], off offset:64
	global_load_b64 v[10:11], v[3:4], off offset:128
	;; [unrolled: 1-line block ×6, first 2 shown]
	ds_store_b64 v12, v[1:2]
	ds_load_b64 v[1:2], v12 offset:64
	ds_load_b64 v[19:20], v7 offset:832
	v_mul_u32_u24_e32 v38, 6, v27
	v_cmp_gt_u32_e64 s2, 6, v28
	v_add3_u32 v39, 0, v0, v5
	v_lshlrev_b32_e32 v37, 4, v36
	s_delay_alu instid0(VALU_DEP_4) | instskip(NEXT) | instid1(VALU_DEP_2)
	v_lshlrev_b32_e32 v38, 3, v38
	v_add3_u32 v37, 0, v37, v5
	s_wait_dscnt 0x0
	v_dual_add_f32 v21, v1, v19 :: v_dual_add_f32 v22, v20, v2
	v_sub_f32_e32 v23, v1, v19
	v_sub_f32_e32 v1, v2, v20
	s_wait_loadcnt 0x5
	s_delay_alu instid0(VALU_DEP_2) | instskip(NEXT) | instid1(VALU_DEP_2)
	v_fma_f32 v24, v23, v9, v21
	v_fma_f32 v2, v22, v9, v1
	v_fma_f32 v19, -v23, v9, v21
	v_fma_f32 v20, v22, v9, -v1
	s_delay_alu instid0(VALU_DEP_4) | instskip(NEXT) | instid1(VALU_DEP_3)
	v_fma_f32 v1, -v8, v22, v24
	v_dual_fmac_f32 v2, v23, v8 :: v_dual_fmac_f32 v19, v8, v22
	s_delay_alu instid0(VALU_DEP_3)
	v_fmac_f32_e32 v20, v23, v8
	ds_store_b64 v12, v[1:2] offset:64
	ds_store_b64 v7, v[19:20] offset:832
	ds_load_b64 v[1:2], v12 offset:128
	ds_load_b64 v[8:9], v7 offset:768
	s_wait_dscnt 0x0
	v_add_f32_e32 v19, v1, v8
	v_add_f32_e32 v20, v9, v2
	v_sub_f32_e32 v21, v1, v8
	v_sub_f32_e32 v1, v2, v9
	s_wait_loadcnt 0x4
	s_delay_alu instid0(VALU_DEP_2) | instskip(NEXT) | instid1(VALU_DEP_2)
	v_fma_f32 v22, v21, v11, v19
	v_fma_f32 v2, v20, v11, v1
	v_fma_f32 v8, -v21, v11, v19
	v_fma_f32 v9, v20, v11, -v1
	s_delay_alu instid0(VALU_DEP_4) | instskip(NEXT) | instid1(VALU_DEP_4)
	v_fma_f32 v1, -v10, v20, v22
	v_fmac_f32_e32 v2, v21, v10
	s_delay_alu instid0(VALU_DEP_3)
	v_dual_fmac_f32 v8, v10, v20 :: v_dual_fmac_f32 v9, v21, v10
	ds_store_b64 v12, v[1:2] offset:128
	ds_store_b64 v7, v[8:9] offset:768
	ds_load_b64 v[1:2], v12 offset:192
	ds_load_b64 v[8:9], v7 offset:704
	s_wait_dscnt 0x0
	v_add_f32_e32 v10, v1, v8
	v_add_f32_e32 v11, v9, v2
	v_sub_f32_e32 v19, v1, v8
	v_sub_f32_e32 v1, v2, v9
	s_wait_loadcnt 0x3
	s_delay_alu instid0(VALU_DEP_2) | instskip(NEXT) | instid1(VALU_DEP_2)
	v_fma_f32 v20, v19, v14, v10
	v_fma_f32 v2, v11, v14, v1
	v_fma_f32 v8, -v19, v14, v10
	v_fma_f32 v9, v11, v14, -v1
	s_delay_alu instid0(VALU_DEP_4) | instskip(NEXT) | instid1(VALU_DEP_4)
	v_fma_f32 v1, -v13, v11, v20
	v_fmac_f32_e32 v2, v19, v13
	s_delay_alu instid0(VALU_DEP_3)
	v_dual_fmac_f32 v8, v13, v11 :: v_dual_fmac_f32 v9, v19, v13
	ds_store_b64 v12, v[1:2] offset:192
	ds_store_b64 v7, v[8:9] offset:704
	ds_load_b64 v[1:2], v12 offset:256
	ds_load_b64 v[8:9], v7 offset:640
	s_wait_dscnt 0x0
	v_add_f32_e32 v10, v1, v8
	v_add_f32_e32 v11, v9, v2
	v_sub_f32_e32 v13, v1, v8
	v_sub_f32_e32 v1, v2, v9
	s_wait_loadcnt 0x2
	s_delay_alu instid0(VALU_DEP_2) | instskip(NEXT) | instid1(VALU_DEP_2)
	v_fma_f32 v14, v13, v16, v10
	v_fma_f32 v2, v11, v16, v1
	v_fma_f32 v8, -v13, v16, v10
	v_fma_f32 v9, v11, v16, -v1
	s_delay_alu instid0(VALU_DEP_4) | instskip(NEXT) | instid1(VALU_DEP_4)
	v_fma_f32 v1, -v15, v11, v14
	v_fmac_f32_e32 v2, v13, v15
	s_delay_alu instid0(VALU_DEP_4) | instskip(NEXT) | instid1(VALU_DEP_4)
	v_fmac_f32_e32 v8, v15, v11
	v_fmac_f32_e32 v9, v13, v15
	ds_store_b64 v12, v[1:2] offset:256
	ds_store_b64 v7, v[8:9] offset:640
	ds_load_b64 v[1:2], v12 offset:320
	ds_load_b64 v[8:9], v7 offset:576
	s_wait_dscnt 0x0
	v_add_f32_e32 v10, v1, v8
	v_add_f32_e32 v11, v9, v2
	v_sub_f32_e32 v13, v1, v8
	v_sub_f32_e32 v1, v2, v9
	s_wait_loadcnt 0x1
	s_delay_alu instid0(VALU_DEP_2) | instskip(NEXT) | instid1(VALU_DEP_2)
	v_fma_f32 v14, v13, v18, v10
	v_fma_f32 v2, v11, v18, v1
	v_fma_f32 v8, -v13, v18, v10
	v_fma_f32 v9, v11, v18, -v1
	s_delay_alu instid0(VALU_DEP_4) | instskip(NEXT) | instid1(VALU_DEP_4)
	v_fma_f32 v1, -v17, v11, v14
	v_fmac_f32_e32 v2, v13, v17
	s_delay_alu instid0(VALU_DEP_4) | instskip(NEXT) | instid1(VALU_DEP_4)
	v_fmac_f32_e32 v8, v17, v11
	v_fmac_f32_e32 v9, v13, v17
	ds_store_b64 v12, v[1:2] offset:320
	ds_store_b64 v7, v[8:9] offset:576
	ds_load_b64 v[1:2], v12 offset:384
	ds_load_b64 v[8:9], v7 offset:512
	s_wait_dscnt 0x0
	v_add_f32_e32 v10, v1, v8
	v_add_f32_e32 v11, v9, v2
	v_sub_f32_e32 v13, v1, v8
	v_sub_f32_e32 v1, v2, v9
	s_wait_loadcnt 0x0
	s_delay_alu instid0(VALU_DEP_2) | instskip(NEXT) | instid1(VALU_DEP_2)
	v_fma_f32 v14, v13, v4, v10
	v_fma_f32 v2, v11, v4, v1
	v_fma_f32 v8, -v13, v4, v10
	v_fma_f32 v9, v11, v4, -v1
	s_delay_alu instid0(VALU_DEP_4) | instskip(NEXT) | instid1(VALU_DEP_4)
	v_fma_f32 v1, -v3, v11, v14
	v_fmac_f32_e32 v2, v13, v3
	s_delay_alu instid0(VALU_DEP_4) | instskip(NEXT) | instid1(VALU_DEP_4)
	v_fmac_f32_e32 v8, v3, v11
	v_fmac_f32_e32 v9, v13, v3
	ds_store_b64 v12, v[1:2] offset:384
	ds_store_b64 v7, v[8:9] offset:512
	global_wb scope:SCOPE_SE
	s_wait_dscnt 0x0
	s_barrier_signal -1
	s_barrier_wait -1
	global_inv scope:SCOPE_SE
	global_wb scope:SCOPE_SE
	s_barrier_signal -1
	s_barrier_wait -1
	global_inv scope:SCOPE_SE
	ds_load_2addr_b64 v[1:4], v29 offset0:56 offset1:64
	ds_load_b64 v[10:11], v12
	ds_load_2addr_b64 v[6:9], v29 offset0:8 offset1:16
	ds_load_2addr_b64 v[13:16], v29 offset0:72 offset1:80
	;; [unrolled: 1-line block ×5, first 2 shown]
	ds_load_b64 v[25:26], v29 offset:832
	global_wb scope:SCOPE_SE
	s_wait_dscnt 0x0
	s_barrier_signal -1
	s_barrier_wait -1
	global_inv scope:SCOPE_SE
	v_dual_sub_f32 v0, v10, v1 :: v_dual_sub_f32 v1, v11, v2
	v_dual_sub_f32 v2, v6, v3 :: v_dual_sub_f32 v3, v7, v4
	;; [unrolled: 1-line block ×7, first 2 shown]
	v_fma_f32 v6, v6, 2.0, -v2
	v_fma_f32 v7, v7, 2.0, -v3
	;; [unrolled: 1-line block ×14, first 2 shown]
	ds_store_2addr_b64 v37, v[6:7], v[2:3] offset1:1
	ds_store_2addr_b64 v39, v[10:11], v[0:1] offset1:1
	ds_store_2addr_b64 v39, v[8:9], v[13:14] offset0:32 offset1:33
	ds_store_2addr_b64 v39, v[17:18], v[15:16] offset0:48 offset1:49
	;; [unrolled: 1-line block ×5, first 2 shown]
	global_wb scope:SCOPE_SE
	s_wait_dscnt 0x0
	s_barrier_signal -1
	s_barrier_wait -1
	global_inv scope:SCOPE_SE
	s_clause 0x2
	global_load_b128 v[0:3], v38, s[6:7]
	global_load_b128 v[6:9], v38, s[6:7] offset:16
	global_load_b128 v[13:16], v38, s[6:7] offset:32
	v_lshrrev_b32_e32 v10, 1, v36
	v_lshrrev_b32_e32 v4, 1, v28
	ds_load_2addr_b64 v[17:20], v29 offset0:8 offset1:16
	ds_load_2addr_b64 v[21:24], v29 offset0:24 offset1:32
	;; [unrolled: 1-line block ×3, first 2 shown]
	v_mul_u32_u24_e32 v10, 14, v10
	v_mul_u32_u24_e32 v4, 14, v4
	s_delay_alu instid0(VALU_DEP_2)
	v_or_b32_e32 v25, v10, v27
	ds_load_2addr_b32 v[10:11], v29 offset0:128 offset1:129
	ds_load_2addr_b64 v[37:40], v29 offset0:72 offset1:80
	ds_load_2addr_b64 v[41:44], v29 offset0:88 offset1:96
	v_or_b32_e32 v4, v4, v27
	v_lshlrev_b32_e32 v25, 3, v25
	s_delay_alu instid0(VALU_DEP_2) | instskip(NEXT) | instid1(VALU_DEP_1)
	v_lshlrev_b32_e32 v4, 3, v4
	v_add3_u32 v27, 0, v4, v5
	s_wait_loadcnt_dscnt 0x205
	v_mul_f32_e32 v48, v1, v20
	s_wait_dscnt 0x4
	v_dual_mul_f32 v49, v1, v19 :: v_dual_mul_f32 v60, v22, v1
	s_wait_loadcnt_dscnt 0x0
	v_mul_f32_e32 v58, v44, v16
	v_add3_u32 v47, 0, v25, v5
	ds_load_b64 v[4:5], v12
	ds_load_b64 v[25:26], v29 offset:832
	ds_load_b64 v[45:46], v29 offset:448
	v_mul_f32_e32 v50, v3, v24
	v_dual_mul_f32 v51, v3, v23 :: v_dual_mul_f32 v64, v42, v14
	v_dual_mul_f32 v54, v11, v9 :: v_dual_mul_f32 v55, v9, v10
	v_fmac_f32_e32 v48, v0, v19
	v_mul_f32_e32 v56, v40, v14
	v_mul_f32_e32 v57, v39, v14
	v_dual_mul_f32 v59, v43, v16 :: v_dual_mul_f32 v14, v41, v14
	v_mul_f32_e32 v52, v7, v34
	v_mul_f32_e32 v53, v7, v33
	v_dual_mul_f32 v1, v21, v1 :: v_dual_fmac_f32 v50, v2, v23
	s_delay_alu instid0(VALU_DEP_3)
	v_dual_mul_f32 v61, v32, v3 :: v_dual_fmac_f32 v52, v6, v33
	v_dual_mul_f32 v3, v31, v3 :: v_dual_fmac_f32 v54, v8, v10
	;; [unrolled: 1-line block ×3, first 2 shown]
	s_wait_dscnt 0x0
	v_mul_f32_e32 v62, v46, v7
	v_dual_mul_f32 v7, v45, v7 :: v_dual_fmac_f32 v56, v39, v13
	v_mul_f32_e32 v65, v26, v16
	v_mul_f32_e32 v16, v25, v16
	s_delay_alu instid0(VALU_DEP_4)
	v_fmac_f32_e32 v62, v45, v6
	v_mul_f32_e32 v9, v37, v9
	v_fma_f32 v19, v0, v20, -v49
	v_fma_f32 v20, v2, v24, -v51
	;; [unrolled: 1-line block ×6, first 2 shown]
	v_dual_fmac_f32 v60, v21, v0 :: v_dual_fmac_f32 v61, v31, v2
	v_fma_f32 v0, v22, v0, -v1
	v_fma_f32 v1, v32, v2, -v3
	;; [unrolled: 1-line block ×3, first 2 shown]
	v_fmac_f32_e32 v64, v41, v13
	v_fma_f32 v6, v42, v13, -v14
	v_dual_fmac_f32 v65, v25, v15 :: v_dual_sub_f32 v14, v19, v24
	v_fma_f32 v7, v26, v15, -v16
	v_dual_fmac_f32 v63, v37, v8 :: v_dual_add_f32 v16, v20, v11
	v_fma_f32 v3, v38, v8, -v9
	v_dual_add_f32 v8, v48, v58 :: v_dual_add_f32 v9, v19, v24
	v_add_f32_e32 v15, v50, v56
	v_dual_sub_f32 v13, v48, v58 :: v_dual_sub_f32 v22, v54, v52
	v_dual_sub_f32 v19, v50, v56 :: v_dual_add_f32 v24, v0, v7
	v_dual_sub_f32 v11, v20, v11 :: v_dual_add_f32 v26, v1, v6
	v_add_f32_e32 v20, v52, v54
	v_dual_add_f32 v21, v23, v10 :: v_dual_sub_f32 v10, v10, v23
	v_add_f32_e32 v23, v60, v65
	v_dual_sub_f32 v0, v0, v7 :: v_dual_add_f32 v7, v61, v64
	v_dual_sub_f32 v25, v60, v65 :: v_dual_add_f32 v32, v2, v3
	v_dual_sub_f32 v31, v61, v64 :: v_dual_sub_f32 v2, v3, v2
	v_dual_sub_f32 v1, v1, v6 :: v_dual_add_f32 v34, v16, v9
	v_dual_add_f32 v6, v62, v63 :: v_dual_sub_f32 v33, v63, v62
	v_dual_sub_f32 v38, v16, v9 :: v_dual_add_f32 v3, v15, v8
	v_dual_add_f32 v40, v10, v11 :: v_dual_sub_f32 v37, v15, v8
	v_sub_f32_e32 v42, v10, v11
	v_dual_sub_f32 v8, v8, v20 :: v_dual_sub_f32 v9, v9, v21
	v_dual_sub_f32 v15, v20, v15 :: v_dual_sub_f32 v16, v21, v16
	v_add_f32_e32 v39, v22, v19
	v_dual_sub_f32 v11, v11, v14 :: v_dual_add_f32 v44, v26, v24
	v_dual_add_f32 v43, v7, v23 :: v_dual_sub_f32 v46, v26, v24
	v_dual_sub_f32 v41, v22, v19 :: v_dual_sub_f32 v24, v24, v32
	v_dual_sub_f32 v10, v14, v10 :: v_dual_sub_f32 v19, v19, v13
	;; [unrolled: 1-line block ×3, first 2 shown]
	v_dual_sub_f32 v23, v23, v6 :: v_dual_add_f32 v48, v33, v31
	v_sub_f32_e32 v7, v6, v7
	v_dual_add_f32 v49, v2, v1 :: v_dual_sub_f32 v50, v33, v31
	v_sub_f32_e32 v51, v2, v1
	v_dual_sub_f32 v31, v31, v25 :: v_dual_mul_f32 v8, 0x3f4a47b2, v8
	v_dual_sub_f32 v1, v1, v0 :: v_dual_mul_f32 v42, 0x3f08b237, v42
	v_dual_add_f32 v3, v20, v3 :: v_dual_add_f32 v20, v21, v34
	v_dual_sub_f32 v22, v13, v22 :: v_dual_add_f32 v21, v39, v13
	v_mul_f32_e32 v52, 0xbf5ff5aa, v19
	v_dual_mul_f32 v9, 0x3f4a47b2, v9 :: v_dual_add_f32 v6, v6, v43
	v_dual_mul_f32 v39, 0x3d64c772, v15 :: v_dual_add_f32 v32, v32, v44
	v_dual_sub_f32 v33, v25, v33 :: v_dual_add_f32 v34, v40, v14
	v_sub_f32_e32 v2, v0, v2
	v_mul_f32_e32 v40, 0x3d64c772, v16
	v_dual_mul_f32 v41, 0x3f08b237, v41 :: v_dual_add_f32 v0, v49, v0
	v_dual_mul_f32 v53, 0xbf5ff5aa, v11 :: v_dual_add_f32 v14, v20, v5
	v_dual_add_f32 v25, v48, v25 :: v_dual_mul_f32 v24, 0x3f4a47b2, v24
	v_mul_f32_e32 v23, 0x3f4a47b2, v23
	v_dual_mul_f32 v43, 0x3d64c772, v7 :: v_dual_mul_f32 v44, 0x3d64c772, v26
	v_dual_mul_f32 v48, 0x3f08b237, v50 :: v_dual_mul_f32 v49, 0x3f08b237, v51
	;; [unrolled: 1-line block ×3, first 2 shown]
	v_add_f32_e32 v13, v3, v4
	v_dual_fmamk_f32 v4, v15, 0x3d64c772, v8 :: v_dual_fmamk_f32 v5, v16, 0x3d64c772, v9
	v_dual_add_f32 v15, v6, v17 :: v_dual_add_f32 v16, v32, v18
	v_fma_f32 v39, 0x3f3bfb3b, v37, -v39
	v_fma_f32 v40, 0x3f3bfb3b, v38, -v40
	v_fma_f32 v8, 0xbf3bfb3b, v37, -v8
	v_fma_f32 v9, 0xbf3bfb3b, v38, -v9
	v_fmamk_f32 v37, v22, 0xbeae86e6, v41
	v_fmamk_f32 v38, v10, 0xbeae86e6, v42
	v_fma_f32 v41, 0xbf5ff5aa, v19, -v41
	v_fma_f32 v11, 0xbf5ff5aa, v11, -v42
	v_fma_f32 v42, 0x3eae86e6, v22, -v52
	v_fma_f32 v18, 0x3f3bfb3b, v45, -v43
	v_fma_f32 v19, 0x3f3bfb3b, v46, -v44
	v_fma_f32 v22, 0xbf3bfb3b, v45, -v23
	v_dual_fmamk_f32 v43, v33, 0xbeae86e6, v48 :: v_dual_fmamk_f32 v44, v2, 0xbeae86e6, v49
	v_fma_f32 v45, 0xbf5ff5aa, v31, -v48
	v_fma_f32 v33, 0x3eae86e6, v33, -v50
	;; [unrolled: 1-line block ×3, first 2 shown]
	v_fmamk_f32 v2, v20, 0xbf955555, v14
	v_fmamk_f32 v7, v7, 0x3d64c772, v23
	v_fma_f32 v23, 0xbf3bfb3b, v46, -v24
	v_fma_f32 v46, 0xbf5ff5aa, v1, -v49
	v_fmamk_f32 v1, v3, 0xbf955555, v13
	v_fma_f32 v10, 0x3eae86e6, v10, -v53
	v_dual_fmamk_f32 v17, v26, 0x3d64c772, v24 :: v_dual_add_f32 v24, v40, v2
	v_dual_fmamk_f32 v3, v6, 0xbf955555, v15 :: v_dual_fmamk_f32 v6, v32, 0xbf955555, v16
	v_dual_fmac_f32 v38, 0xbee1c552, v34 :: v_dual_fmac_f32 v43, 0xbee1c552, v25
	v_dual_fmac_f32 v44, 0xbee1c552, v0 :: v_dual_fmac_f32 v45, 0xbee1c552, v25
	;; [unrolled: 1-line block ×3, first 2 shown]
	v_fmac_f32_e32 v48, 0xbee1c552, v0
	v_add_f32_e32 v0, v4, v1
	v_dual_fmac_f32 v37, 0xbee1c552, v21 :: v_dual_add_f32 v4, v5, v2
	v_dual_fmac_f32 v41, 0xbee1c552, v21 :: v_dual_fmac_f32 v10, 0xbee1c552, v34
	v_dual_fmac_f32 v11, 0xbee1c552, v34 :: v_dual_fmac_f32 v42, 0xbee1c552, v21
	v_dual_add_f32 v2, v9, v2 :: v_dual_add_f32 v5, v39, v1
	v_dual_add_f32 v1, v8, v1 :: v_dual_add_f32 v34, v7, v3
	v_add_f32_e32 v39, v17, v6
	v_dual_add_f32 v7, v18, v3 :: v_dual_add_f32 v8, v19, v6
	v_dual_add_f32 v9, v22, v3 :: v_dual_add_f32 v40, v23, v6
	v_dual_add_f32 v17, v38, v0 :: v_dual_sub_f32 v18, v4, v37
	v_dual_add_f32 v19, v10, v1 :: v_dual_add_f32 v22, v41, v24
	v_dual_sub_f32 v20, v2, v42 :: v_dual_sub_f32 v21, v5, v11
	v_dual_add_f32 v26, v42, v2 :: v_dual_add_f32 v23, v11, v5
	v_add_f32_e32 v32, v37, v4
	v_dual_sub_f32 v24, v24, v41 :: v_dual_sub_f32 v25, v1, v10
	v_add_f32_e32 v2, v48, v9
	v_dual_sub_f32 v31, v0, v38 :: v_dual_add_f32 v6, v46, v7
	v_dual_add_f32 v0, v44, v34 :: v_dual_sub_f32 v1, v39, v43
	global_wb scope:SCOPE_SE
	s_barrier_signal -1
	s_barrier_wait -1
	global_inv scope:SCOPE_SE
	v_dual_sub_f32 v3, v40, v33 :: v_dual_sub_f32 v4, v7, v46
	v_add_f32_e32 v5, v45, v8
	v_dual_sub_f32 v7, v8, v45 :: v_dual_sub_f32 v8, v9, v48
	v_add_f32_e32 v9, v33, v40
	v_dual_sub_f32 v10, v34, v44 :: v_dual_add_f32 v11, v43, v39
	ds_store_2addr_b64 v27, v[13:14], v[17:18] offset1:2
	ds_store_2addr_b64 v27, v[19:20], v[21:22] offset0:4 offset1:6
	ds_store_2addr_b64 v27, v[23:24], v[25:26] offset0:8 offset1:10
	ds_store_b64 v27, v[31:32] offset:96
	ds_store_2addr_b64 v47, v[15:16], v[0:1] offset1:2
	ds_store_2addr_b64 v47, v[2:3], v[4:5] offset0:4 offset1:6
	ds_store_2addr_b64 v47, v[6:7], v[8:9] offset0:8 offset1:10
	ds_store_b64 v47, v[10:11] offset:96
	global_wb scope:SCOPE_SE
	s_wait_dscnt 0x0
	s_barrier_signal -1
	s_barrier_wait -1
	global_inv scope:SCOPE_SE
	ds_load_2addr_b64 v[24:27], v29 offset0:14 offset1:28
	ds_load_2addr_b64 v[20:23], v29 offset0:42 offset1:56
	;; [unrolled: 1-line block ×3, first 2 shown]
	ds_load_b64 v[31:32], v12
	ds_load_b64 v[33:34], v29 offset:784
                                        ; implicit-def: $vgpr13
	s_and_saveexec_b32 s3, s2
	s_cbranch_execz .LBB0_12
; %bb.11:
	ds_load_2addr_b64 v[0:3], v29 offset0:8 offset1:22
	ds_load_2addr_b64 v[4:7], v29 offset0:36 offset1:50
	;; [unrolled: 1-line block ×4, first 2 shown]
.LBB0_12:
	s_wait_alu 0xfffe
	s_or_b32 exec_lo, exec_lo, s3
	v_mul_u32_u24_e32 v37, 7, v28
	v_cmp_gt_u32_e64 s3, 14, v36
	s_delay_alu instid0(VALU_DEP_2)
	v_lshlrev_b32_e32 v49, 3, v37
	s_clause 0x3
	global_load_b128 v[37:40], v49, s[6:7] offset:96
	global_load_b128 v[41:44], v49, s[6:7] offset:112
	;; [unrolled: 1-line block ×3, first 2 shown]
	global_load_b64 v[49:50], v49, s[6:7] offset:144
	global_wb scope:SCOPE_SE
	s_wait_loadcnt_dscnt 0x0
	s_barrier_signal -1
	s_barrier_wait -1
	global_inv scope:SCOPE_SE
	v_dual_mul_f32 v51, v38, v25 :: v_dual_mul_f32 v52, v40, v27
	v_mul_f32_e32 v38, v38, v24
	v_dual_mul_f32 v40, v40, v26 :: v_dual_mul_f32 v53, v42, v21
	v_dual_mul_f32 v54, v44, v23 :: v_dual_mul_f32 v55, v46, v17
	s_delay_alu instid0(VALU_DEP_4)
	v_dual_mul_f32 v44, v44, v22 :: v_dual_fmac_f32 v51, v37, v24
	v_dual_mul_f32 v56, v48, v19 :: v_dual_mul_f32 v57, v50, v34
	v_mul_f32_e32 v42, v42, v20
	v_dual_mul_f32 v48, v48, v18 :: v_dual_fmac_f32 v53, v41, v20
	v_fma_f32 v24, v37, v25, -v38
	v_fma_f32 v25, v39, v27, -v40
	v_fmac_f32_e32 v54, v43, v22
	v_mul_f32_e32 v46, v46, v16
	v_dual_mul_f32 v50, v50, v33 :: v_dual_fmac_f32 v55, v45, v16
	v_fmac_f32_e32 v57, v49, v33
	v_fma_f32 v20, v41, v21, -v42
	v_fma_f32 v21, v43, v23, -v44
	;; [unrolled: 1-line block ×4, first 2 shown]
	v_fmac_f32_e32 v52, v39, v26
	v_sub_f32_e32 v23, v51, v55
	v_sub_f32_e32 v21, v32, v21
	s_delay_alu instid0(VALU_DEP_4) | instskip(SKIP_1) | instid1(VALU_DEP_4)
	v_sub_f32_e32 v17, v25, v17
	v_dual_sub_f32 v19, v31, v54 :: v_dual_sub_f32 v16, v24, v16
	v_fma_f32 v33, v51, 2.0, -v23
	s_delay_alu instid0(VALU_DEP_3) | instskip(NEXT) | instid1(VALU_DEP_3)
	v_fma_f32 v25, v25, 2.0, -v17
	v_add_f32_e32 v37, v19, v17
	v_fma_f32 v27, v31, 2.0, -v19
	v_fma_f32 v31, v32, 2.0, -v21
	;; [unrolled: 1-line block ×3, first 2 shown]
	s_delay_alu instid0(VALU_DEP_4) | instskip(NEXT) | instid1(VALU_DEP_3)
	v_fma_f32 v39, v19, 2.0, -v37
	v_sub_f32_e32 v25, v31, v25
	v_fmac_f32_e32 v56, v47, v18
	v_fma_f32 v18, v49, v34, -v50
	s_delay_alu instid0(VALU_DEP_3) | instskip(NEXT) | instid1(VALU_DEP_3)
	v_fma_f32 v43, v31, 2.0, -v25
	v_sub_f32_e32 v22, v52, v56
	s_delay_alu instid0(VALU_DEP_1) | instskip(NEXT) | instid1(VALU_DEP_4)
	v_sub_f32_e32 v38, v21, v22
	v_sub_f32_e32 v18, v20, v18
	v_fma_f32 v32, v52, 2.0, -v22
	s_delay_alu instid0(VALU_DEP_3) | instskip(NEXT) | instid1(VALU_DEP_3)
	v_fma_f32 v40, v21, 2.0, -v38
	v_add_f32_e32 v22, v23, v18
	v_sub_f32_e32 v26, v53, v57
	s_delay_alu instid0(VALU_DEP_1) | instskip(SKIP_1) | instid1(VALU_DEP_2)
	v_fma_f32 v34, v53, 2.0, -v26
	v_sub_f32_e32 v26, v16, v26
	v_dual_sub_f32 v32, v27, v32 :: v_dual_sub_f32 v21, v33, v34
	s_delay_alu instid0(VALU_DEP_2) | instskip(SKIP_2) | instid1(VALU_DEP_4)
	v_fma_f32 v41, v16, 2.0, -v26
	v_fmamk_f32 v17, v26, 0x3f3504f3, v38
	v_fma_f32 v20, v20, 2.0, -v18
	v_fma_f32 v42, v27, 2.0, -v32
	s_delay_alu instid0(VALU_DEP_4) | instskip(SKIP_1) | instid1(VALU_DEP_4)
	v_fmamk_f32 v19, v41, 0xbf3504f3, v40
	v_fma_f32 v34, v23, 2.0, -v22
	v_sub_f32_e32 v20, v24, v20
	v_fmamk_f32 v16, v22, 0x3f3504f3, v37
	v_fma_f32 v23, v33, 2.0, -v21
	s_delay_alu instid0(VALU_DEP_4) | instskip(NEXT) | instid1(VALU_DEP_4)
	v_dual_sub_f32 v21, v25, v21 :: v_dual_fmamk_f32 v18, v34, 0xbf3504f3, v39
	v_fma_f32 v24, v24, 2.0, -v20
	v_dual_add_f32 v20, v32, v20 :: v_dual_fmac_f32 v19, 0xbf3504f3, v34
	v_fmac_f32_e32 v16, 0x3f3504f3, v26
	v_dual_fmac_f32 v17, 0xbf3504f3, v22 :: v_dual_sub_f32 v22, v42, v23
	s_delay_alu instid0(VALU_DEP_4) | instskip(NEXT) | instid1(VALU_DEP_4)
	v_dual_sub_f32 v23, v43, v24 :: v_dual_fmac_f32 v18, 0x3f3504f3, v41
	v_fma_f32 v24, v32, 2.0, -v20
	v_fma_f32 v25, v25, 2.0, -v21
	;; [unrolled: 1-line block ×8, first 2 shown]
	ds_store_2addr_b64 v29, v[24:25], v[26:27] offset0:28 offset1:42
	ds_store_2addr_b64 v29, v[22:23], v[18:19] offset0:56 offset1:70
	ds_store_2addr_b64 v29, v[31:32], v[33:34] offset1:14
	ds_store_2addr_b64 v29, v[20:21], v[16:17] offset0:84 offset1:98
	s_and_saveexec_b32 s8, s2
	s_cbranch_execz .LBB0_14
; %bb.13:
	v_dual_mov_b32 v17, 0 :: v_dual_add_nc_u32 v16, -6, v28
	s_delay_alu instid0(VALU_DEP_1) | instskip(NEXT) | instid1(VALU_DEP_1)
	v_cndmask_b32_e64 v16, v16, v36, s3
	v_mul_i32_i24_e32 v16, 7, v16
	s_delay_alu instid0(VALU_DEP_1) | instskip(NEXT) | instid1(VALU_DEP_1)
	v_lshlrev_b64_e32 v[16:17], 3, v[16:17]
	v_add_co_u32 v31, s2, s6, v16
	s_wait_alu 0xf1ff
	s_delay_alu instid0(VALU_DEP_2)
	v_add_co_ci_u32_e64 v32, s2, s7, v17, s2
	s_clause 0x3
	global_load_b128 v[16:19], v[31:32], off offset:112
	global_load_b128 v[20:23], v[31:32], off offset:96
	;; [unrolled: 1-line block ×3, first 2 shown]
	global_load_b64 v[31:32], v[31:32], off offset:144
	s_wait_loadcnt 0x3
	v_mul_f32_e32 v33, v8, v19
	s_wait_loadcnt 0x2
	v_dual_mul_f32 v34, v5, v23 :: v_dual_mul_f32 v37, v2, v21
	s_wait_loadcnt 0x1
	v_dual_mul_f32 v36, v13, v27 :: v_dual_mul_f32 v39, v7, v17
	v_mul_f32_e32 v38, v10, v25
	s_wait_loadcnt 0x0
	v_dual_mul_f32 v40, v15, v32 :: v_dual_mul_f32 v17, v6, v17
	v_dual_mul_f32 v32, v14, v32 :: v_dual_mul_f32 v21, v3, v21
	v_dual_mul_f32 v19, v9, v19 :: v_dual_fmac_f32 v36, v12, v26
	v_dual_mul_f32 v25, v11, v25 :: v_dual_fmac_f32 v34, v4, v22
	v_fma_f32 v9, v9, v18, -v33
	v_mul_f32_e32 v23, v4, v23
	v_fma_f32 v3, v3, v20, -v37
	v_fma_f32 v4, v11, v24, -v38
	v_mul_f32_e32 v27, v12, v27
	v_dual_fmac_f32 v40, v14, v31 :: v_dual_fmac_f32 v19, v8, v18
	v_fmac_f32_e32 v39, v6, v16
	v_fma_f32 v6, v7, v16, -v17
	v_fma_f32 v7, v15, v31, -v32
	v_sub_f32_e32 v8, v1, v9
	v_dual_sub_f32 v12, v0, v19 :: v_dual_fmac_f32 v25, v10, v24
	v_sub_f32_e32 v4, v3, v4
	s_delay_alu instid0(VALU_DEP_4) | instskip(SKIP_3) | instid1(VALU_DEP_4)
	v_dual_sub_f32 v10, v39, v40 :: v_dual_sub_f32 v7, v6, v7
	v_fmac_f32_e32 v21, v2, v20
	v_fma_f32 v2, v5, v22, -v23
	v_fma_f32 v5, v13, v26, -v27
	v_sub_f32_e32 v14, v4, v10
	v_fma_f32 v17, v1, 2.0, -v8
	v_fma_f32 v19, v3, 2.0, -v4
	;; [unrolled: 1-line block ×3, first 2 shown]
	v_sub_f32_e32 v5, v2, v5
	s_delay_alu instid0(VALU_DEP_1) | instskip(NEXT) | instid1(VALU_DEP_1)
	v_fma_f32 v2, v2, 2.0, -v5
	v_sub_f32_e32 v20, v17, v2
	v_add_f32_e32 v16, v12, v5
	v_sub_f32_e32 v11, v21, v25
	v_fma_f32 v5, v39, 2.0, -v10
	v_fma_f32 v10, v0, 2.0, -v12
	s_delay_alu instid0(VALU_DEP_4) | instskip(NEXT) | instid1(VALU_DEP_4)
	v_fma_f32 v12, v12, 2.0, -v16
	v_add_f32_e32 v15, v11, v7
	v_sub_f32_e32 v9, v34, v36
	v_sub_f32_e32 v7, v19, v3
	s_delay_alu instid0(VALU_DEP_2) | instskip(SKIP_1) | instid1(VALU_DEP_2)
	v_dual_fmamk_f32 v0, v15, 0x3f3504f3, v16 :: v_dual_sub_f32 v13, v8, v9
	v_fma_f32 v9, v34, 2.0, -v9
	v_fmac_f32_e32 v0, 0x3f3504f3, v14
	v_fma_f32 v18, v21, 2.0, -v11
	s_delay_alu instid0(VALU_DEP_1) | instskip(SKIP_2) | instid1(VALU_DEP_1)
	v_sub_f32_e32 v6, v18, v5
	v_fma_f32 v11, v11, 2.0, -v15
	v_sub_f32_e32 v21, v10, v9
	v_dual_sub_f32 v3, v20, v6 :: v_dual_add_f32 v2, v21, v7
	v_fma_f32 v22, v8, 2.0, -v13
	v_fma_f32 v8, v4, 2.0, -v14
	v_fmamk_f32 v4, v11, 0xbf3504f3, v12
	v_fmamk_f32 v1, v14, 0x3f3504f3, v13
	v_fma_f32 v14, v17, 2.0, -v20
	v_fma_f32 v17, v10, 2.0, -v21
	;; [unrolled: 1-line block ×3, first 2 shown]
	v_fmac_f32_e32 v4, 0x3f3504f3, v8
	v_fmac_f32_e32 v1, 0xbf3504f3, v15
	v_fmamk_f32 v5, v8, 0xbf3504f3, v22
	v_fma_f32 v6, v16, 2.0, -v0
	v_sub_f32_e32 v10, v17, v10
	v_fma_f32 v15, v19, 2.0, -v7
	v_fma_f32 v7, v13, 2.0, -v1
	v_fmac_f32_e32 v5, 0xbf3504f3, v11
	v_fma_f32 v9, v20, 2.0, -v3
	v_fma_f32 v8, v21, 2.0, -v2
	v_sub_f32_e32 v11, v14, v15
	v_fma_f32 v12, v12, 2.0, -v4
	v_fma_f32 v13, v22, 2.0, -v5
	s_delay_alu instid0(VALU_DEP_3)
	v_fma_f32 v15, v14, 2.0, -v11
	v_fma_f32 v14, v17, 2.0, -v10
	ds_store_2addr_b64 v29, v[8:9], v[6:7] offset0:36 offset1:50
	ds_store_2addr_b64 v29, v[10:11], v[4:5] offset0:64 offset1:78
	ds_store_2addr_b64 v29, v[14:15], v[12:13] offset0:8 offset1:22
	ds_store_2addr_b64 v29, v[2:3], v[0:1] offset0:92 offset1:106
.LBB0_14:
	s_wait_alu 0xfffe
	s_or_b32 exec_lo, exec_lo, s8
	global_wb scope:SCOPE_SE
	s_wait_dscnt 0x0
	s_barrier_signal -1
	s_barrier_wait -1
	global_inv scope:SCOPE_SE
	s_and_saveexec_b32 s2, vcc_lo
	s_cbranch_execz .LBB0_16
; %bb.15:
	v_mad_co_u64_u32 v[4:5], null, s4, v30, 0
	s_load_b64 s[0:1], s[0:1], 0x58
	v_lshl_add_u32 v22, v28, 3, v35
	v_dual_mov_b32 v29, 0 :: v_dual_add_nc_u32 v10, 16, v28
	v_add_nc_u32_e32 v12, 24, v28
	v_add_nc_u32_e32 v18, 0x60, v28
	s_delay_alu instid0(VALU_DEP_3) | instskip(SKIP_3) | instid1(VALU_DEP_4)
	v_dual_mov_b32 v0, v5 :: v_dual_mov_b32 v9, v29
	v_lshlrev_b64_e32 v[14:15], 3, v[28:29]
	v_mov_b32_e32 v11, v29
	v_mov_b32_e32 v13, v29
	v_mad_co_u64_u32 v[0:1], null, s5, v30, v[0:1]
	v_dual_mov_b32 v19, v29 :: v_dual_add_nc_u32 v8, 8, v28
	s_delay_alu instid0(VALU_DEP_4) | instskip(NEXT) | instid1(VALU_DEP_3)
	v_lshlrev_b64_e32 v[10:11], 3, v[10:11]
	v_mov_b32_e32 v5, v0
	ds_load_2addr_b64 v[0:3], v22 offset1:8
	v_lshlrev_b64_e32 v[8:9], 3, v[8:9]
	v_lshlrev_b64_e32 v[18:19], 3, v[18:19]
	;; [unrolled: 1-line block ×3, first 2 shown]
	ds_load_2addr_b64 v[4:7], v22 offset0:16 offset1:24
	s_wait_kmcnt 0x0
	v_add_co_u32 v24, vcc_lo, s0, v16
	v_add_co_ci_u32_e32 v25, vcc_lo, s1, v17, vcc_lo
	v_add_nc_u32_e32 v16, 32, v28
	s_delay_alu instid0(VALU_DEP_3) | instskip(SKIP_1) | instid1(VALU_DEP_3)
	v_add_co_u32 v14, vcc_lo, v24, v14
	s_wait_alu 0xfffd
	v_add_co_ci_u32_e32 v15, vcc_lo, v25, v15, vcc_lo
	v_lshlrev_b64_e32 v[12:13], 3, v[12:13]
	v_add_co_u32 v8, vcc_lo, v24, v8
	s_wait_alu 0xfffd
	v_add_co_ci_u32_e32 v9, vcc_lo, v25, v9, vcc_lo
	v_add_co_u32 v10, vcc_lo, v24, v10
	s_wait_alu 0xfffd
	v_add_co_ci_u32_e32 v11, vcc_lo, v25, v11, vcc_lo
	v_mov_b32_e32 v17, v29
	v_add_co_u32 v12, vcc_lo, v24, v12
	s_wait_alu 0xfffd
	v_add_co_ci_u32_e32 v13, vcc_lo, v25, v13, vcc_lo
	s_wait_dscnt 0x1
	s_clause 0x1
	global_store_b64 v[14:15], v[0:1], off
	global_store_b64 v[8:9], v[2:3], off
	s_wait_dscnt 0x0
	s_clause 0x1
	global_store_b64 v[10:11], v[4:5], off
	global_store_b64 v[12:13], v[6:7], off
	v_add_nc_u32_e32 v6, 40, v28
	v_lshlrev_b64_e32 v[4:5], 3, v[16:17]
	v_dual_mov_b32 v7, v29 :: v_dual_add_nc_u32 v8, 48, v28
	ds_load_2addr_b64 v[0:3], v22 offset0:32 offset1:40
	v_dual_mov_b32 v9, v29 :: v_dual_add_nc_u32 v14, 56, v28
	v_add_co_u32 v10, vcc_lo, v24, v4
	s_wait_alu 0xfffd
	v_add_co_ci_u32_e32 v11, vcc_lo, v25, v5, vcc_lo
	v_lshlrev_b64_e32 v[12:13], 3, v[6:7]
	ds_load_2addr_b64 v[4:7], v22 offset0:48 offset1:56
	v_dual_mov_b32 v15, v29 :: v_dual_add_nc_u32 v16, 64, v28
	v_lshlrev_b64_e32 v[8:9], 3, v[8:9]
	v_add_co_u32 v12, vcc_lo, v24, v12
	s_delay_alu instid0(VALU_DEP_3) | instskip(SKIP_2) | instid1(VALU_DEP_4)
	v_lshlrev_b64_e32 v[14:15], 3, v[14:15]
	s_wait_alu 0xfffd
	v_add_co_ci_u32_e32 v13, vcc_lo, v25, v13, vcc_lo
	v_add_co_u32 v8, vcc_lo, v24, v8
	s_wait_alu 0xfffd
	v_add_co_ci_u32_e32 v9, vcc_lo, v25, v9, vcc_lo
	v_add_co_u32 v14, vcc_lo, v24, v14
	s_wait_alu 0xfffd
	v_add_co_ci_u32_e32 v15, vcc_lo, v25, v15, vcc_lo
	s_wait_dscnt 0x1
	s_clause 0x1
	global_store_b64 v[10:11], v[0:1], off
	global_store_b64 v[12:13], v[2:3], off
	s_wait_dscnt 0x0
	s_clause 0x1
	global_store_b64 v[8:9], v[4:5], off
	global_store_b64 v[14:15], v[6:7], off
	v_dual_mov_b32 v5, v29 :: v_dual_add_nc_u32 v4, 0x48, v28
	v_lshlrev_b64_e32 v[16:17], 3, v[16:17]
	v_dual_mov_b32 v7, v29 :: v_dual_add_nc_u32 v6, 0x50, v28
	v_dual_mov_b32 v9, v29 :: v_dual_add_nc_u32 v8, 0x58, v28
	s_delay_alu instid0(VALU_DEP_4) | instskip(NEXT) | instid1(VALU_DEP_4)
	v_lshlrev_b64_e32 v[4:5], 3, v[4:5]
	v_add_co_u32 v12, vcc_lo, v24, v16
	s_delay_alu instid0(VALU_DEP_4) | instskip(SKIP_2) | instid1(VALU_DEP_4)
	v_lshlrev_b64_e32 v[10:11], 3, v[6:7]
	s_wait_alu 0xfffd
	v_add_co_ci_u32_e32 v13, vcc_lo, v25, v17, vcc_lo
	v_add_co_u32 v14, vcc_lo, v24, v4
	ds_load_2addr_b64 v[0:3], v22 offset0:64 offset1:72
	s_wait_alu 0xfffd
	v_add_co_ci_u32_e32 v15, vcc_lo, v25, v5, vcc_lo
	ds_load_2addr_b64 v[4:7], v22 offset0:80 offset1:88
	v_add_co_u32 v20, vcc_lo, v24, v10
	v_lshlrev_b64_e32 v[16:17], 3, v[8:9]
	s_wait_alu 0xfffd
	v_add_co_ci_u32_e32 v21, vcc_lo, v25, v11, vcc_lo
	ds_load_2addr_b64 v[8:11], v22 offset0:96 offset1:104
	v_add_nc_u32_e32 v28, 0x68, v28
	v_add_co_u32 v16, vcc_lo, v24, v16
	s_wait_alu 0xfffd
	v_add_co_ci_u32_e32 v17, vcc_lo, v25, v17, vcc_lo
	s_delay_alu instid0(VALU_DEP_3) | instskip(SKIP_3) | instid1(VALU_DEP_3)
	v_lshlrev_b64_e32 v[22:23], 3, v[28:29]
	v_add_co_u32 v18, vcc_lo, v24, v18
	s_wait_alu 0xfffd
	v_add_co_ci_u32_e32 v19, vcc_lo, v25, v19, vcc_lo
	v_add_co_u32 v22, vcc_lo, v24, v22
	s_wait_alu 0xfffd
	v_add_co_ci_u32_e32 v23, vcc_lo, v25, v23, vcc_lo
	s_wait_dscnt 0x2
	s_clause 0x1
	global_store_b64 v[12:13], v[0:1], off
	global_store_b64 v[14:15], v[2:3], off
	s_wait_dscnt 0x1
	s_clause 0x1
	global_store_b64 v[20:21], v[4:5], off
	global_store_b64 v[16:17], v[6:7], off
	;; [unrolled: 4-line block ×3, first 2 shown]
.LBB0_16:
	s_nop 0
	s_sendmsg sendmsg(MSG_DEALLOC_VGPRS)
	s_endpgm
	.section	.rodata,"a",@progbits
	.p2align	6, 0x0
	.amdhsa_kernel fft_rtc_back_len112_factors_2_7_8_wgs_64_tpt_8_dim1_sp_op_CI_CI_unitstride_sbrr_C2R_dirReg
		.amdhsa_group_segment_fixed_size 0
		.amdhsa_private_segment_fixed_size 0
		.amdhsa_kernarg_size 96
		.amdhsa_user_sgpr_count 2
		.amdhsa_user_sgpr_dispatch_ptr 0
		.amdhsa_user_sgpr_queue_ptr 0
		.amdhsa_user_sgpr_kernarg_segment_ptr 1
		.amdhsa_user_sgpr_dispatch_id 0
		.amdhsa_user_sgpr_private_segment_size 0
		.amdhsa_wavefront_size32 1
		.amdhsa_uses_dynamic_stack 0
		.amdhsa_enable_private_segment 0
		.amdhsa_system_sgpr_workgroup_id_x 1
		.amdhsa_system_sgpr_workgroup_id_y 0
		.amdhsa_system_sgpr_workgroup_id_z 0
		.amdhsa_system_sgpr_workgroup_info 0
		.amdhsa_system_vgpr_workitem_id 0
		.amdhsa_next_free_vgpr 66
		.amdhsa_next_free_sgpr 12
		.amdhsa_reserve_vcc 1
		.amdhsa_float_round_mode_32 0
		.amdhsa_float_round_mode_16_64 0
		.amdhsa_float_denorm_mode_32 3
		.amdhsa_float_denorm_mode_16_64 3
		.amdhsa_fp16_overflow 0
		.amdhsa_workgroup_processor_mode 1
		.amdhsa_memory_ordered 1
		.amdhsa_forward_progress 0
		.amdhsa_round_robin_scheduling 0
		.amdhsa_exception_fp_ieee_invalid_op 0
		.amdhsa_exception_fp_denorm_src 0
		.amdhsa_exception_fp_ieee_div_zero 0
		.amdhsa_exception_fp_ieee_overflow 0
		.amdhsa_exception_fp_ieee_underflow 0
		.amdhsa_exception_fp_ieee_inexact 0
		.amdhsa_exception_int_div_zero 0
	.end_amdhsa_kernel
	.text
.Lfunc_end0:
	.size	fft_rtc_back_len112_factors_2_7_8_wgs_64_tpt_8_dim1_sp_op_CI_CI_unitstride_sbrr_C2R_dirReg, .Lfunc_end0-fft_rtc_back_len112_factors_2_7_8_wgs_64_tpt_8_dim1_sp_op_CI_CI_unitstride_sbrr_C2R_dirReg
                                        ; -- End function
	.section	.AMDGPU.csdata,"",@progbits
; Kernel info:
; codeLenInByte = 5900
; NumSgprs: 14
; NumVgprs: 66
; ScratchSize: 0
; MemoryBound: 0
; FloatMode: 240
; IeeeMode: 1
; LDSByteSize: 0 bytes/workgroup (compile time only)
; SGPRBlocks: 1
; VGPRBlocks: 8
; NumSGPRsForWavesPerEU: 14
; NumVGPRsForWavesPerEU: 66
; Occupancy: 16
; WaveLimiterHint : 1
; COMPUTE_PGM_RSRC2:SCRATCH_EN: 0
; COMPUTE_PGM_RSRC2:USER_SGPR: 2
; COMPUTE_PGM_RSRC2:TRAP_HANDLER: 0
; COMPUTE_PGM_RSRC2:TGID_X_EN: 1
; COMPUTE_PGM_RSRC2:TGID_Y_EN: 0
; COMPUTE_PGM_RSRC2:TGID_Z_EN: 0
; COMPUTE_PGM_RSRC2:TIDIG_COMP_CNT: 0
	.text
	.p2alignl 7, 3214868480
	.fill 96, 4, 3214868480
	.type	__hip_cuid_e3b37b23b90d3334,@object ; @__hip_cuid_e3b37b23b90d3334
	.section	.bss,"aw",@nobits
	.globl	__hip_cuid_e3b37b23b90d3334
__hip_cuid_e3b37b23b90d3334:
	.byte	0                               ; 0x0
	.size	__hip_cuid_e3b37b23b90d3334, 1

	.ident	"AMD clang version 19.0.0git (https://github.com/RadeonOpenCompute/llvm-project roc-6.4.0 25133 c7fe45cf4b819c5991fe208aaa96edf142730f1d)"
	.section	".note.GNU-stack","",@progbits
	.addrsig
	.addrsig_sym __hip_cuid_e3b37b23b90d3334
	.amdgpu_metadata
---
amdhsa.kernels:
  - .args:
      - .actual_access:  read_only
        .address_space:  global
        .offset:         0
        .size:           8
        .value_kind:     global_buffer
      - .actual_access:  read_only
        .address_space:  global
        .offset:         8
        .size:           8
        .value_kind:     global_buffer
      - .actual_access:  read_only
        .address_space:  global
        .offset:         16
        .size:           8
        .value_kind:     global_buffer
      - .actual_access:  read_only
        .address_space:  global
        .offset:         24
        .size:           8
        .value_kind:     global_buffer
      - .offset:         32
        .size:           8
        .value_kind:     by_value
      - .actual_access:  read_only
        .address_space:  global
        .offset:         40
        .size:           8
        .value_kind:     global_buffer
      - .actual_access:  read_only
        .address_space:  global
        .offset:         48
        .size:           8
        .value_kind:     global_buffer
      - .offset:         56
        .size:           4
        .value_kind:     by_value
      - .actual_access:  read_only
        .address_space:  global
        .offset:         64
        .size:           8
        .value_kind:     global_buffer
      - .actual_access:  read_only
        .address_space:  global
        .offset:         72
        .size:           8
        .value_kind:     global_buffer
      - .actual_access:  read_only
        .address_space:  global
        .offset:         80
        .size:           8
        .value_kind:     global_buffer
      - .actual_access:  write_only
        .address_space:  global
        .offset:         88
        .size:           8
        .value_kind:     global_buffer
    .group_segment_fixed_size: 0
    .kernarg_segment_align: 8
    .kernarg_segment_size: 96
    .language:       OpenCL C
    .language_version:
      - 2
      - 0
    .max_flat_workgroup_size: 64
    .name:           fft_rtc_back_len112_factors_2_7_8_wgs_64_tpt_8_dim1_sp_op_CI_CI_unitstride_sbrr_C2R_dirReg
    .private_segment_fixed_size: 0
    .sgpr_count:     14
    .sgpr_spill_count: 0
    .symbol:         fft_rtc_back_len112_factors_2_7_8_wgs_64_tpt_8_dim1_sp_op_CI_CI_unitstride_sbrr_C2R_dirReg.kd
    .uniform_work_group_size: 1
    .uses_dynamic_stack: false
    .vgpr_count:     66
    .vgpr_spill_count: 0
    .wavefront_size: 32
    .workgroup_processor_mode: 1
amdhsa.target:   amdgcn-amd-amdhsa--gfx1201
amdhsa.version:
  - 1
  - 2
...

	.end_amdgpu_metadata
